;; amdgpu-corpus repo=ROCm/rocFFT kind=compiled arch=gfx950 opt=O3
	.text
	.amdgcn_target "amdgcn-amd-amdhsa--gfx950"
	.amdhsa_code_object_version 6
	.protected	fft_rtc_fwd_len260_factors_13_10_2_wgs_52_tpt_26_dp_ip_CI_sbrr_dirReg ; -- Begin function fft_rtc_fwd_len260_factors_13_10_2_wgs_52_tpt_26_dp_ip_CI_sbrr_dirReg
	.globl	fft_rtc_fwd_len260_factors_13_10_2_wgs_52_tpt_26_dp_ip_CI_sbrr_dirReg
	.p2align	8
	.type	fft_rtc_fwd_len260_factors_13_10_2_wgs_52_tpt_26_dp_ip_CI_sbrr_dirReg,@function
fft_rtc_fwd_len260_factors_13_10_2_wgs_52_tpt_26_dp_ip_CI_sbrr_dirReg: ; @fft_rtc_fwd_len260_factors_13_10_2_wgs_52_tpt_26_dp_ip_CI_sbrr_dirReg
; %bb.0:
	s_load_dwordx2 s[12:13], s[0:1], 0x18
	s_load_dwordx4 s[4:7], s[0:1], 0x0
	s_load_dwordx2 s[10:11], s[0:1], 0x50
	v_mul_u32_u24_e32 v1, 0x9d9, v0
	v_lshrrev_b32_e32 v55, 16, v1
	s_waitcnt lgkmcnt(0)
	s_load_dwordx2 s[8:9], s[12:13], 0x0
	v_lshl_add_u32 v6, s2, 1, v55
	v_mov_b32_e32 v4, 0
	v_cmp_lt_u64_e64 s[2:3], s[6:7], 2
	v_mov_b32_e32 v7, v4
	s_and_b64 vcc, exec, s[2:3]
	v_mov_b64_e32 v[2:3], 0
	s_cbranch_vccnz .LBB0_8
; %bb.1:
	s_load_dwordx2 s[2:3], s[0:1], 0x10
	s_add_u32 s14, s12, 8
	s_addc_u32 s15, s13, 0
	s_mov_b64 s[16:17], 1
	v_mov_b64_e32 v[2:3], 0
	s_waitcnt lgkmcnt(0)
	s_add_u32 s18, s2, 8
	s_addc_u32 s19, s3, 0
.LBB0_2:                                ; =>This Inner Loop Header: Depth=1
	s_load_dwordx2 s[20:21], s[18:19], 0x0
                                        ; implicit-def: $vgpr8_vgpr9
	s_waitcnt lgkmcnt(0)
	v_or_b32_e32 v5, s21, v7
	v_cmp_ne_u64_e32 vcc, 0, v[4:5]
	s_and_saveexec_b64 s[2:3], vcc
	s_xor_b64 s[22:23], exec, s[2:3]
	s_cbranch_execz .LBB0_4
; %bb.3:                                ;   in Loop: Header=BB0_2 Depth=1
	v_cvt_f32_u32_e32 v1, s20
	v_cvt_f32_u32_e32 v5, s21
	s_sub_u32 s2, 0, s20
	s_subb_u32 s3, 0, s21
	v_fmac_f32_e32 v1, 0x4f800000, v5
	v_rcp_f32_e32 v1, v1
	s_nop 0
	v_mul_f32_e32 v1, 0x5f7ffffc, v1
	v_mul_f32_e32 v5, 0x2f800000, v1
	v_trunc_f32_e32 v5, v5
	v_fmac_f32_e32 v1, 0xcf800000, v5
	v_cvt_u32_f32_e32 v5, v5
	v_cvt_u32_f32_e32 v1, v1
	v_mul_lo_u32 v8, s2, v5
	v_mul_hi_u32 v10, s2, v1
	v_mul_lo_u32 v9, s3, v1
	v_add_u32_e32 v10, v10, v8
	v_mul_lo_u32 v12, s2, v1
	v_add_u32_e32 v13, v10, v9
	v_mul_hi_u32 v8, v1, v12
	v_mul_hi_u32 v11, v1, v13
	v_mul_lo_u32 v10, v1, v13
	v_mov_b32_e32 v9, v4
	v_lshl_add_u64 v[8:9], v[8:9], 0, v[10:11]
	v_mul_hi_u32 v11, v5, v12
	v_mul_lo_u32 v12, v5, v12
	v_add_co_u32_e32 v8, vcc, v8, v12
	v_mul_hi_u32 v10, v5, v13
	s_nop 0
	v_addc_co_u32_e32 v8, vcc, v9, v11, vcc
	v_mov_b32_e32 v9, v4
	s_nop 0
	v_addc_co_u32_e32 v11, vcc, 0, v10, vcc
	v_mul_lo_u32 v10, v5, v13
	v_lshl_add_u64 v[8:9], v[8:9], 0, v[10:11]
	v_add_co_u32_e32 v1, vcc, v1, v8
	v_mul_lo_u32 v10, s2, v1
	s_nop 0
	v_addc_co_u32_e32 v5, vcc, v5, v9, vcc
	v_mul_lo_u32 v8, s2, v5
	v_mul_hi_u32 v9, s2, v1
	v_add_u32_e32 v8, v9, v8
	v_mul_lo_u32 v9, s3, v1
	v_add_u32_e32 v12, v8, v9
	v_mul_hi_u32 v14, v5, v10
	v_mul_lo_u32 v15, v5, v10
	v_mul_hi_u32 v9, v1, v12
	v_mul_lo_u32 v8, v1, v12
	v_mul_hi_u32 v10, v1, v10
	v_mov_b32_e32 v11, v4
	v_lshl_add_u64 v[8:9], v[10:11], 0, v[8:9]
	v_add_co_u32_e32 v8, vcc, v8, v15
	v_mul_hi_u32 v13, v5, v12
	s_nop 0
	v_addc_co_u32_e32 v8, vcc, v9, v14, vcc
	v_mul_lo_u32 v10, v5, v12
	s_nop 0
	v_addc_co_u32_e32 v11, vcc, 0, v13, vcc
	v_mov_b32_e32 v9, v4
	v_lshl_add_u64 v[8:9], v[8:9], 0, v[10:11]
	v_add_co_u32_e32 v1, vcc, v1, v8
	v_mul_hi_u32 v10, v6, v1
	s_nop 0
	v_addc_co_u32_e32 v5, vcc, v5, v9, vcc
	v_mad_u64_u32 v[8:9], s[2:3], v6, v5, 0
	v_mov_b32_e32 v11, v4
	v_lshl_add_u64 v[8:9], v[10:11], 0, v[8:9]
	v_mad_u64_u32 v[12:13], s[2:3], v7, v1, 0
	v_add_co_u32_e32 v1, vcc, v8, v12
	v_mad_u64_u32 v[10:11], s[2:3], v7, v5, 0
	s_nop 0
	v_addc_co_u32_e32 v8, vcc, v9, v13, vcc
	v_mov_b32_e32 v9, v4
	s_nop 0
	v_addc_co_u32_e32 v11, vcc, 0, v11, vcc
	v_lshl_add_u64 v[8:9], v[8:9], 0, v[10:11]
	v_mul_lo_u32 v1, s21, v8
	v_mul_lo_u32 v5, s20, v9
	v_mad_u64_u32 v[10:11], s[2:3], s20, v8, 0
	v_add3_u32 v1, v11, v5, v1
	v_sub_u32_e32 v5, v7, v1
	v_mov_b32_e32 v11, s21
	v_sub_co_u32_e32 v14, vcc, v6, v10
	v_lshl_add_u64 v[12:13], v[8:9], 0, 1
	s_nop 0
	v_subb_co_u32_e64 v5, s[2:3], v5, v11, vcc
	v_subrev_co_u32_e64 v10, s[2:3], s20, v14
	v_subb_co_u32_e32 v1, vcc, v7, v1, vcc
	s_nop 0
	v_subbrev_co_u32_e64 v5, s[2:3], 0, v5, s[2:3]
	v_cmp_le_u32_e64 s[2:3], s21, v5
	v_cmp_le_u32_e32 vcc, s21, v1
	s_nop 0
	v_cndmask_b32_e64 v11, 0, -1, s[2:3]
	v_cmp_le_u32_e64 s[2:3], s20, v10
	s_nop 1
	v_cndmask_b32_e64 v10, 0, -1, s[2:3]
	v_cmp_eq_u32_e64 s[2:3], s21, v5
	s_nop 1
	v_cndmask_b32_e64 v5, v11, v10, s[2:3]
	v_lshl_add_u64 v[10:11], v[8:9], 0, 2
	v_cmp_ne_u32_e64 s[2:3], 0, v5
	s_nop 1
	v_cndmask_b32_e64 v5, v13, v11, s[2:3]
	v_cndmask_b32_e64 v11, 0, -1, vcc
	v_cmp_le_u32_e32 vcc, s20, v14
	s_nop 1
	v_cndmask_b32_e64 v13, 0, -1, vcc
	v_cmp_eq_u32_e32 vcc, s21, v1
	s_nop 1
	v_cndmask_b32_e32 v1, v11, v13, vcc
	v_cmp_ne_u32_e32 vcc, 0, v1
	v_cndmask_b32_e64 v1, v12, v10, s[2:3]
	s_nop 0
	v_cndmask_b32_e32 v9, v9, v5, vcc
	v_cndmask_b32_e32 v8, v8, v1, vcc
.LBB0_4:                                ;   in Loop: Header=BB0_2 Depth=1
	s_andn2_saveexec_b64 s[2:3], s[22:23]
	s_cbranch_execz .LBB0_6
; %bb.5:                                ;   in Loop: Header=BB0_2 Depth=1
	v_cvt_f32_u32_e32 v1, s20
	s_sub_i32 s22, 0, s20
	v_rcp_iflag_f32_e32 v1, v1
	s_nop 0
	v_mul_f32_e32 v1, 0x4f7ffffe, v1
	v_cvt_u32_f32_e32 v1, v1
	v_mul_lo_u32 v5, s22, v1
	v_mul_hi_u32 v5, v1, v5
	v_add_u32_e32 v1, v1, v5
	v_mul_hi_u32 v1, v6, v1
	v_mul_lo_u32 v5, v1, s20
	v_sub_u32_e32 v5, v6, v5
	v_add_u32_e32 v8, 1, v1
	v_subrev_u32_e32 v9, s20, v5
	v_cmp_le_u32_e32 vcc, s20, v5
	s_nop 1
	v_cndmask_b32_e32 v5, v5, v9, vcc
	v_cndmask_b32_e32 v1, v1, v8, vcc
	v_add_u32_e32 v8, 1, v1
	v_cmp_le_u32_e32 vcc, s20, v5
	v_mov_b32_e32 v9, v4
	s_nop 0
	v_cndmask_b32_e32 v8, v1, v8, vcc
.LBB0_6:                                ;   in Loop: Header=BB0_2 Depth=1
	s_or_b64 exec, exec, s[2:3]
	v_mad_u64_u32 v[10:11], s[2:3], v8, s20, 0
	s_load_dwordx2 s[2:3], s[14:15], 0x0
	v_mul_lo_u32 v1, v9, s20
	v_mul_lo_u32 v5, v8, s21
	v_add3_u32 v1, v11, v5, v1
	v_sub_co_u32_e32 v5, vcc, v6, v10
	s_add_u32 s16, s16, 1
	s_nop 0
	v_subb_co_u32_e32 v1, vcc, v7, v1, vcc
	s_addc_u32 s17, s17, 0
	s_waitcnt lgkmcnt(0)
	v_mul_lo_u32 v1, s2, v1
	v_mul_lo_u32 v6, s3, v5
	v_mad_u64_u32 v[2:3], s[2:3], s2, v5, v[2:3]
	s_add_u32 s14, s14, 8
	v_add3_u32 v3, v6, v3, v1
	s_addc_u32 s15, s15, 0
	v_mov_b64_e32 v[6:7], s[6:7]
	s_add_u32 s18, s18, 8
	v_cmp_ge_u64_e32 vcc, s[16:17], v[6:7]
	s_addc_u32 s19, s19, 0
	s_cbranch_vccnz .LBB0_9
; %bb.7:                                ;   in Loop: Header=BB0_2 Depth=1
	v_mov_b64_e32 v[6:7], v[8:9]
	s_branch .LBB0_2
.LBB0_8:
	v_mov_b64_e32 v[8:9], v[6:7]
.LBB0_9:
	s_lshl_b64 s[2:3], s[6:7], 3
	s_add_u32 s2, s12, s2
	s_addc_u32 s3, s13, s3
	s_load_dwordx2 s[6:7], s[2:3], 0x0
	s_load_dwordx2 s[12:13], s[0:1], 0x20
                                        ; implicit-def: $vgpr50_vgpr51
                                        ; implicit-def: $vgpr42_vgpr43
                                        ; implicit-def: $vgpr46_vgpr47
                                        ; implicit-def: $vgpr34_vgpr35
                                        ; implicit-def: $vgpr38_vgpr39
                                        ; implicit-def: $vgpr26_vgpr27
                                        ; implicit-def: $vgpr30_vgpr31
                                        ; implicit-def: $vgpr22_vgpr23
                                        ; implicit-def: $vgpr18_vgpr19
                                        ; implicit-def: $vgpr14_vgpr15
                                        ; implicit-def: $vgpr10_vgpr11
                                        ; implicit-def: $vgpr6_vgpr7
	s_waitcnt lgkmcnt(0)
	v_mad_u64_u32 v[2:3], s[0:1], s6, v8, v[2:3]
	v_mul_lo_u32 v1, s6, v9
	v_mul_lo_u32 v4, s7, v8
	s_mov_b32 s0, 0x9d89d8a
	v_add3_u32 v3, v4, v3, v1
	v_mul_hi_u32 v1, v0, s0
	v_mul_u32_u24_e32 v1, 26, v1
	v_sub_u32_e32 v54, v0, v1
	v_cmp_gt_u64_e32 vcc, s[12:13], v[8:9]
	v_cmp_gt_u32_e64 s[0:1], 20, v54
	s_and_b64 s[6:7], vcc, s[0:1]
	v_lshl_add_u64 v[52:53], v[2:3], 4, s[10:11]
                                        ; implicit-def: $vgpr2_vgpr3
	s_and_saveexec_b64 s[2:3], s[6:7]
	s_cbranch_execz .LBB0_11
; %bb.10:
	v_mad_u64_u32 v[0:1], s[6:7], s8, v54, 0
	v_mov_b32_e32 v2, v1
	v_mad_u64_u32 v[2:3], s[6:7], s9, v54, v[2:3]
	v_mov_b32_e32 v1, v2
	v_add_u32_e32 v3, 20, v54
	v_lshl_add_u64 v[8:9], v[0:1], 4, v[52:53]
	v_mad_u64_u32 v[0:1], s[6:7], s8, v3, 0
	v_mov_b32_e32 v2, v1
	v_mad_u64_u32 v[2:3], s[6:7], s9, v3, v[2:3]
	v_mov_b32_e32 v1, v2
	v_lshl_add_u64 v[10:11], v[0:1], 4, v[52:53]
	global_load_dwordx4 v[0:3], v[8:9], off
	global_load_dwordx4 v[4:7], v[10:11], off
	v_add_u32_e32 v11, 40, v54
	v_mad_u64_u32 v[8:9], s[6:7], s8, v11, 0
	v_mov_b32_e32 v10, v9
	v_mad_u64_u32 v[10:11], s[6:7], s9, v11, v[10:11]
	v_mov_b32_e32 v9, v10
	v_add_u32_e32 v11, 60, v54
	v_lshl_add_u64 v[16:17], v[8:9], 4, v[52:53]
	v_mad_u64_u32 v[8:9], s[6:7], s8, v11, 0
	v_mov_b32_e32 v10, v9
	v_mad_u64_u32 v[10:11], s[6:7], s9, v11, v[10:11]
	v_mov_b32_e32 v9, v10
	v_lshl_add_u64 v[18:19], v[8:9], 4, v[52:53]
	global_load_dwordx4 v[8:11], v[16:17], off
	global_load_dwordx4 v[12:15], v[18:19], off
	v_add_u32_e32 v19, 0x50, v54
	;; [unrolled: 14-line block ×3, first 2 shown]
	v_mad_u64_u32 v[24:25], s[6:7], s8, v27, 0
	v_mov_b32_e32 v26, v25
	v_mad_u64_u32 v[26:27], s[6:7], s9, v27, v[26:27]
	v_mov_b32_e32 v25, v26
	v_add_u32_e32 v27, 0x8c, v54
	v_lshl_add_u64 v[32:33], v[24:25], 4, v[52:53]
	v_mad_u64_u32 v[24:25], s[6:7], s8, v27, 0
	v_mov_b32_e32 v26, v25
	v_mad_u64_u32 v[26:27], s[6:7], s9, v27, v[26:27]
	v_mov_b32_e32 v25, v26
	v_lshl_add_u64 v[34:35], v[24:25], 4, v[52:53]
	global_load_dwordx4 v[28:31], v[32:33], off
	global_load_dwordx4 v[24:27], v[34:35], off
	v_or_b32_e32 v35, 0xa0, v54
	v_mad_u64_u32 v[32:33], s[6:7], s8, v35, 0
	v_mov_b32_e32 v34, v33
	v_mad_u64_u32 v[34:35], s[6:7], s9, v35, v[34:35]
	v_mov_b32_e32 v33, v34
	v_add_u32_e32 v35, 0xb4, v54
	v_lshl_add_u64 v[40:41], v[32:33], 4, v[52:53]
	v_mad_u64_u32 v[32:33], s[6:7], s8, v35, 0
	v_mov_b32_e32 v34, v33
	v_mad_u64_u32 v[34:35], s[6:7], s9, v35, v[34:35]
	v_mov_b32_e32 v33, v34
	v_lshl_add_u64 v[42:43], v[32:33], 4, v[52:53]
	global_load_dwordx4 v[36:39], v[40:41], off
	global_load_dwordx4 v[32:35], v[42:43], off
	v_add_u32_e32 v43, 0xc8, v54
	v_mad_u64_u32 v[40:41], s[6:7], s8, v43, 0
	v_mov_b32_e32 v42, v41
	v_mad_u64_u32 v[42:43], s[6:7], s9, v43, v[42:43]
	v_mov_b32_e32 v41, v42
	v_add_u32_e32 v43, 0xdc, v54
	v_lshl_add_u64 v[48:49], v[40:41], 4, v[52:53]
	v_mad_u64_u32 v[40:41], s[6:7], s8, v43, 0
	v_mov_b32_e32 v42, v41
	v_mad_u64_u32 v[42:43], s[6:7], s9, v43, v[42:43]
	v_mov_b32_e32 v41, v42
	v_lshl_add_u64 v[50:51], v[40:41], 4, v[52:53]
	global_load_dwordx4 v[44:47], v[48:49], off
	global_load_dwordx4 v[40:43], v[50:51], off
	v_add_u32_e32 v51, 0xf0, v54
	v_mad_u64_u32 v[48:49], s[6:7], s8, v51, 0
	v_mov_b32_e32 v50, v49
	v_mad_u64_u32 v[50:51], s[6:7], s9, v51, v[50:51]
	v_mov_b32_e32 v49, v50
	v_lshl_add_u64 v[48:49], v[48:49], 4, v[52:53]
	global_load_dwordx4 v[48:51], v[48:49], off
.LBB0_11:
	s_or_b64 exec, exec, s[2:3]
	v_and_b32_e32 v55, 1, v55
	v_mov_b32_e32 v56, 0x104
	v_cmp_eq_u32_e64 s[2:3], 1, v55
	s_nop 1
	v_cndmask_b32_e64 v55, 0, v56, s[2:3]
	s_and_saveexec_b64 s[2:3], s[0:1]
	s_cbranch_execz .LBB0_13
; %bb.12:
	s_waitcnt vmcnt(11)
	v_add_f64 v[56:57], v[6:7], v[2:3]
	s_waitcnt vmcnt(10)
	v_add_f64 v[56:57], v[10:11], v[56:57]
	;; [unrolled: 2-line block ×6, first 2 shown]
	v_add_f64 v[56:57], v[4:5], v[0:1]
	v_add_f64 v[56:57], v[8:9], v[56:57]
	;; [unrolled: 1-line block ×6, first 2 shown]
	s_waitcnt vmcnt(5)
	v_add_f64 v[56:57], v[26:27], v[30:31]
	v_add_f64 v[62:63], v[28:29], -v[24:25]
	v_add_f64 v[28:29], v[24:25], v[28:29]
	v_add_f64 v[60:61], v[30:31], -v[26:27]
	v_add_f64 v[26:27], v[26:27], v[58:59]
	v_add_f64 v[24:25], v[24:25], v[64:65]
	s_waitcnt vmcnt(4)
	v_add_f64 v[58:59], v[38:39], v[22:23]
	v_add_f64 v[70:71], v[20:21], -v[36:37]
	v_add_f64 v[30:31], v[36:37], v[20:21]
	v_add_f64 v[66:67], v[22:23], -v[38:39]
	v_add_f64 v[20:21], v[38:39], v[26:27]
	v_add_f64 v[22:23], v[36:37], v[24:25]
	;; [unrolled: 7-line block ×3, first 2 shown]
	s_mov_b32 s14, 0x4bc48dbf
	s_waitcnt vmcnt(2)
	v_add_f64 v[64:65], v[46:47], v[14:15]
	v_add_f64 v[76:77], v[12:13], -v[44:45]
	v_add_f64 v[32:33], v[44:45], v[12:13]
	v_add_f64 v[72:73], v[14:15], -v[46:47]
	v_add_f64 v[12:13], v[46:47], v[16:17]
	v_add_f64 v[14:15], v[44:45], v[18:19]
	s_waitcnt vmcnt(0)
	v_add_f64 v[82:83], v[4:5], -v[48:49]
	s_mov_b32 s15, 0xbfcea1e5
	s_mov_b32 s0, 0x93053d00
	v_add_f64 v[44:45], v[42:43], v[10:11]
	v_add_f64 v[80:81], v[8:9], -v[40:41]
	v_add_f64 v[34:35], v[40:41], v[8:9]
	v_add_f64 v[46:47], v[10:11], -v[42:43]
	v_add_f64 v[8:9], v[42:43], v[12:13]
	v_add_f64 v[10:11], v[40:41], v[14:15]
	v_add_f64 v[40:41], v[50:51], v[6:7]
	s_mov_b32 s21, 0x3fddbe06
	s_mov_b32 s20, 0x4267c47c
	;; [unrolled: 1-line block ×4, first 2 shown]
	v_mul_f64 v[12:13], v[82:83], s[14:15]
	s_mov_b32 s18, 0x24c2f84
	v_add_f64 v[78:79], v[6:7], -v[50:51]
	v_add_f64 v[6:7], v[50:51], v[8:9]
	s_mov_b32 s13, 0x3fec55a7
	v_fma_f64 v[8:9], v[40:41], s[0:1], -v[12:13]
	v_mul_f64 v[14:15], v[80:81], s[20:21]
	s_mov_b32 s19, 0xbfe5384d
	s_mov_b32 s6, 0xd0032e0c
	;; [unrolled: 1-line block ×3, first 2 shown]
	v_add_f64 v[42:43], v[48:49], v[4:5]
	v_add_f64 v[4:5], v[48:49], v[10:11]
	;; [unrolled: 1-line block ×3, first 2 shown]
	v_fma_f64 v[10:11], v[44:45], s[12:13], -v[14:15]
	s_mov_b32 s7, 0xbfe7f3cc
	v_mul_f64 v[16:17], v[76:77], s[18:19]
	s_mov_b32 s35, 0x3fea55e2
	s_mov_b32 s10, 0x1ea71119
	;; [unrolled: 1-line block ×3, first 2 shown]
	v_add_f64 v[8:9], v[10:11], v[8:9]
	v_fma_f64 v[10:11], v[64:65], s[6:7], -v[16:17]
	s_mov_b32 s11, 0x3fe22d96
	v_mul_f64 v[18:19], v[74:75], s[34:35]
	s_mov_b32 s25, 0xbfedeba7
	s_mov_b32 s16, 0xb2365da1
	v_add_f64 v[8:9], v[10:11], v[8:9]
	v_fma_f64 v[10:11], v[38:39], s[10:11], -v[18:19]
	s_mov_b32 s17, 0xbfd6b1d8
	v_mul_f64 v[20:21], v[70:71], s[24:25]
	v_add_f64 v[8:9], v[10:11], v[8:9]
	v_fma_f64 v[10:11], v[58:59], s[16:17], -v[20:21]
	v_mul_f64 v[22:23], v[78:79], s[14:15]
	v_add_f64 v[8:9], v[10:11], v[8:9]
	v_fma_f64 v[10:11], s[0:1], v[42:43], v[22:23]
	v_mul_f64 v[24:25], v[46:47], s[20:21]
	v_add_f64 v[10:11], v[0:1], v[10:11]
	v_fma_f64 v[26:27], s[12:13], v[34:35], v[24:25]
	v_fmac_f64_e32 v[12:13], s[0:1], v[40:41]
	v_add_f64 v[10:11], v[26:27], v[10:11]
	v_mul_f64 v[26:27], v[72:73], s[18:19]
	v_fmac_f64_e32 v[14:15], s[12:13], v[44:45]
	v_add_f64 v[12:13], v[2:3], v[12:13]
	v_fma_f64 v[48:49], s[6:7], v[32:33], v[26:27]
	v_add_f64 v[12:13], v[14:15], v[12:13]
	v_fmac_f64_e32 v[16:17], s[6:7], v[64:65]
	v_add_f64 v[10:11], v[48:49], v[10:11]
	v_mul_f64 v[48:49], v[68:69], s[34:35]
	v_add_f64 v[12:13], v[16:17], v[12:13]
	v_fma_f64 v[16:17], v[42:43], s[0:1], -v[22:23]
	v_fma_f64 v[50:51], s[10:11], v[36:37], v[48:49]
	s_mov_b32 s28, 0x66966769
	v_fma_f64 v[14:15], v[34:35], s[12:13], -v[24:25]
	v_add_f64 v[16:17], v[0:1], v[16:17]
	v_add_f64 v[10:11], v[50:51], v[10:11]
	v_mul_f64 v[50:51], v[66:67], s[24:25]
	s_mov_b32 s29, 0x3fefc445
	s_mov_b32 s22, 0xebaa3ed8
	v_fmac_f64_e32 v[18:19], s[10:11], v[38:39]
	v_add_f64 v[14:15], v[14:15], v[16:17]
	v_fma_f64 v[16:17], v[32:33], s[6:7], -v[26:27]
	v_fma_f64 v[84:85], s[16:17], v[30:31], v[50:51]
	s_mov_b32 s23, 0x3fbedb7d
	v_mul_f64 v[86:87], v[62:63], s[28:29]
	v_add_f64 v[12:13], v[18:19], v[12:13]
	v_fmac_f64_e32 v[20:21], s[16:17], v[58:59]
	v_add_f64 v[14:15], v[16:17], v[14:15]
	v_fma_f64 v[16:17], v[36:37], s[10:11], -v[48:49]
	v_add_f64 v[84:85], v[84:85], v[10:11]
	v_fma_f64 v[10:11], v[56:57], s[22:23], -v[86:87]
	v_mul_f64 v[88:89], v[60:61], s[28:29]
	v_add_f64 v[12:13], v[20:21], v[12:13]
	v_add_f64 v[14:15], v[16:17], v[14:15]
	v_fma_f64 v[16:17], v[30:31], s[16:17], -v[50:51]
	v_fmac_f64_e32 v[86:87], s[22:23], v[56:57]
	v_add_f64 v[16:17], v[16:17], v[14:15]
	v_add_f64 v[14:15], v[86:87], v[12:13]
	v_fma_f64 v[12:13], v[28:29], s[22:23], -v[88:89]
	v_mul_f64 v[20:21], v[82:83], s[18:19]
	v_add_f64 v[12:13], v[12:13], v[16:17]
	v_fma_f64 v[16:17], v[40:41], s[6:7], -v[20:21]
	v_mul_f64 v[22:23], v[80:81], s[28:29]
	s_mov_b32 s27, 0xbfea55e2
	s_mov_b32 s26, s34
	v_add_f64 v[16:17], v[2:3], v[16:17]
	v_fma_f64 v[18:19], v[44:45], s[22:23], -v[22:23]
	v_mul_f64 v[24:25], v[76:77], s[26:27]
	s_mov_b32 s39, 0x3fcea1e5
	s_mov_b32 s38, s14
	v_add_f64 v[16:17], v[18:19], v[16:17]
	v_fma_f64 v[18:19], v[64:65], s[10:11], -v[24:25]
	v_mul_f64 v[26:27], v[74:75], s[38:39]
	v_add_f64 v[16:17], v[18:19], v[16:17]
	v_fma_f64 v[18:19], v[38:39], s[0:1], -v[26:27]
	v_mul_f64 v[48:49], v[70:71], s[20:21]
	v_add_f64 v[10:11], v[10:11], v[8:9]
	v_fma_f64 v[8:9], s[22:23], v[28:29], v[88:89]
	v_add_f64 v[16:17], v[18:19], v[16:17]
	v_fma_f64 v[18:19], v[58:59], s[12:13], -v[48:49]
	v_mul_f64 v[50:51], v[78:79], s[18:19]
	v_add_f64 v[8:9], v[8:9], v[84:85]
	v_add_f64 v[16:17], v[18:19], v[16:17]
	v_fma_f64 v[18:19], s[6:7], v[42:43], v[50:51]
	v_mul_f64 v[84:85], v[46:47], s[28:29]
	v_add_f64 v[18:19], v[0:1], v[18:19]
	v_fma_f64 v[86:87], s[22:23], v[34:35], v[84:85]
	v_fmac_f64_e32 v[20:21], s[6:7], v[40:41]
	v_add_f64 v[18:19], v[86:87], v[18:19]
	v_mul_f64 v[86:87], v[72:73], s[26:27]
	v_fmac_f64_e32 v[22:23], s[22:23], v[44:45]
	v_add_f64 v[20:21], v[2:3], v[20:21]
	v_fma_f64 v[88:89], s[10:11], v[32:33], v[86:87]
	v_add_f64 v[20:21], v[22:23], v[20:21]
	v_fmac_f64_e32 v[24:25], s[10:11], v[64:65]
	v_add_f64 v[18:19], v[88:89], v[18:19]
	v_mul_f64 v[88:89], v[68:69], s[38:39]
	v_add_f64 v[20:21], v[24:25], v[20:21]
	v_fma_f64 v[24:25], v[42:43], s[6:7], -v[50:51]
	v_fma_f64 v[90:91], s[0:1], v[36:37], v[88:89]
	v_fma_f64 v[22:23], v[34:35], s[22:23], -v[84:85]
	v_add_f64 v[24:25], v[0:1], v[24:25]
	v_add_f64 v[18:19], v[90:91], v[18:19]
	v_mul_f64 v[90:91], v[66:67], s[20:21]
	v_fmac_f64_e32 v[26:27], s[0:1], v[38:39]
	v_add_f64 v[22:23], v[22:23], v[24:25]
	v_fma_f64 v[24:25], v[32:33], s[10:11], -v[86:87]
	v_fma_f64 v[92:93], s[12:13], v[30:31], v[90:91]
	v_mul_f64 v[94:95], v[62:63], s[24:25]
	v_add_f64 v[20:21], v[26:27], v[20:21]
	v_fmac_f64_e32 v[48:49], s[12:13], v[58:59]
	v_add_f64 v[22:23], v[24:25], v[22:23]
	v_fma_f64 v[24:25], v[36:37], s[0:1], -v[88:89]
	v_add_f64 v[92:93], v[92:93], v[18:19]
	v_fma_f64 v[18:19], v[56:57], s[16:17], -v[94:95]
	v_mul_f64 v[96:97], v[60:61], s[24:25]
	v_add_f64 v[20:21], v[48:49], v[20:21]
	v_add_f64 v[22:23], v[24:25], v[22:23]
	v_fma_f64 v[24:25], v[30:31], s[12:13], -v[90:91]
	v_fmac_f64_e32 v[94:95], s[16:17], v[56:57]
	v_add_f64 v[24:25], v[24:25], v[22:23]
	v_add_f64 v[22:23], v[94:95], v[20:21]
	v_fma_f64 v[20:21], v[28:29], s[16:17], -v[96:97]
	s_mov_b32 s37, 0x3fe5384d
	s_mov_b32 s36, s18
	v_mul_f64 v[48:49], v[82:83], s[24:25]
	v_add_f64 v[20:21], v[20:21], v[24:25]
	v_fma_f64 v[24:25], v[40:41], s[16:17], -v[48:49]
	v_mul_f64 v[50:51], v[80:81], s[36:37]
	v_add_f64 v[24:25], v[2:3], v[24:25]
	v_fma_f64 v[26:27], v[44:45], s[6:7], -v[50:51]
	v_mul_f64 v[84:85], v[76:77], s[20:21]
	s_mov_b32 s31, 0xbfefc445
	s_mov_b32 s30, s28
	v_add_f64 v[24:25], v[26:27], v[24:25]
	v_fma_f64 v[26:27], v[64:65], s[12:13], -v[84:85]
	v_mul_f64 v[86:87], v[74:75], s[30:31]
	v_add_f64 v[24:25], v[26:27], v[24:25]
	v_fma_f64 v[26:27], v[38:39], s[22:23], -v[86:87]
	v_mul_f64 v[88:89], v[70:71], s[38:39]
	v_add_f64 v[18:19], v[18:19], v[16:17]
	v_fma_f64 v[16:17], s[16:17], v[28:29], v[96:97]
	v_add_f64 v[24:25], v[26:27], v[24:25]
	v_fma_f64 v[26:27], v[58:59], s[0:1], -v[88:89]
	v_mul_f64 v[90:91], v[78:79], s[24:25]
	v_add_f64 v[16:17], v[16:17], v[92:93]
	v_add_f64 v[24:25], v[26:27], v[24:25]
	v_fma_f64 v[26:27], s[16:17], v[42:43], v[90:91]
	v_mul_f64 v[92:93], v[46:47], s[36:37]
	v_add_f64 v[26:27], v[0:1], v[26:27]
	v_fma_f64 v[94:95], s[6:7], v[34:35], v[92:93]
	v_fmac_f64_e32 v[48:49], s[16:17], v[40:41]
	v_add_f64 v[26:27], v[94:95], v[26:27]
	v_mul_f64 v[94:95], v[72:73], s[20:21]
	v_fmac_f64_e32 v[50:51], s[6:7], v[44:45]
	v_add_f64 v[48:49], v[2:3], v[48:49]
	v_fma_f64 v[96:97], s[12:13], v[32:33], v[94:95]
	v_add_f64 v[48:49], v[50:51], v[48:49]
	v_fmac_f64_e32 v[84:85], s[12:13], v[64:65]
	v_add_f64 v[26:27], v[96:97], v[26:27]
	v_mul_f64 v[96:97], v[68:69], s[30:31]
	v_add_f64 v[48:49], v[84:85], v[48:49]
	v_fma_f64 v[84:85], v[42:43], s[16:17], -v[90:91]
	v_fma_f64 v[98:99], s[22:23], v[36:37], v[96:97]
	v_fma_f64 v[50:51], v[34:35], s[6:7], -v[92:93]
	v_add_f64 v[84:85], v[0:1], v[84:85]
	v_add_f64 v[26:27], v[98:99], v[26:27]
	v_mul_f64 v[98:99], v[66:67], s[38:39]
	v_fmac_f64_e32 v[86:87], s[22:23], v[38:39]
	v_add_f64 v[50:51], v[50:51], v[84:85]
	v_fma_f64 v[84:85], v[32:33], s[12:13], -v[94:95]
	v_fma_f64 v[100:101], s[0:1], v[30:31], v[98:99]
	v_mul_f64 v[102:103], v[62:63], s[34:35]
	v_add_f64 v[48:49], v[86:87], v[48:49]
	v_fmac_f64_e32 v[88:89], s[0:1], v[58:59]
	v_add_f64 v[50:51], v[84:85], v[50:51]
	v_fma_f64 v[84:85], v[36:37], s[22:23], -v[96:97]
	v_add_f64 v[100:101], v[100:101], v[26:27]
	v_fma_f64 v[26:27], v[56:57], s[10:11], -v[102:103]
	v_mul_f64 v[104:105], v[60:61], s[34:35]
	v_add_f64 v[48:49], v[88:89], v[48:49]
	v_add_f64 v[50:51], v[84:85], v[50:51]
	v_fma_f64 v[84:85], v[30:31], s[0:1], -v[98:99]
	v_fmac_f64_e32 v[102:103], s[10:11], v[56:57]
	v_add_f64 v[84:85], v[84:85], v[50:51]
	v_add_f64 v[50:51], v[102:103], v[48:49]
	v_fma_f64 v[48:49], v[28:29], s[10:11], -v[104:105]
	v_mul_f64 v[88:89], v[82:83], s[30:31]
	v_add_f64 v[48:49], v[48:49], v[84:85]
	v_fma_f64 v[84:85], v[40:41], s[22:23], -v[88:89]
	v_mul_f64 v[90:91], v[80:81], s[14:15]
	s_mov_b32 s35, 0x3fedeba7
	s_mov_b32 s34, s24
	v_add_f64 v[84:85], v[2:3], v[84:85]
	v_fma_f64 v[86:87], v[44:45], s[0:1], -v[90:91]
	v_mul_f64 v[92:93], v[76:77], s[34:35]
	v_add_f64 v[84:85], v[86:87], v[84:85]
	v_fma_f64 v[86:87], v[64:65], s[16:17], -v[92:93]
	v_mul_f64 v[94:95], v[74:75], s[20:21]
	;; [unrolled: 3-line block ×3, first 2 shown]
	v_add_f64 v[26:27], v[26:27], v[24:25]
	v_fma_f64 v[24:25], s[10:11], v[28:29], v[104:105]
	v_add_f64 v[84:85], v[86:87], v[84:85]
	v_fma_f64 v[86:87], v[58:59], s[10:11], -v[96:97]
	v_mul_f64 v[98:99], v[78:79], s[30:31]
	v_add_f64 v[24:25], v[24:25], v[100:101]
	v_add_f64 v[84:85], v[86:87], v[84:85]
	v_fma_f64 v[86:87], s[22:23], v[42:43], v[98:99]
	v_mul_f64 v[100:101], v[46:47], s[14:15]
	v_add_f64 v[86:87], v[0:1], v[86:87]
	v_fma_f64 v[102:103], s[0:1], v[34:35], v[100:101]
	v_fmac_f64_e32 v[88:89], s[22:23], v[40:41]
	v_add_f64 v[86:87], v[102:103], v[86:87]
	v_mul_f64 v[102:103], v[72:73], s[34:35]
	v_fmac_f64_e32 v[90:91], s[0:1], v[44:45]
	v_add_f64 v[88:89], v[2:3], v[88:89]
	v_fma_f64 v[104:105], s[16:17], v[32:33], v[102:103]
	v_add_f64 v[88:89], v[90:91], v[88:89]
	v_fmac_f64_e32 v[92:93], s[16:17], v[64:65]
	v_add_f64 v[86:87], v[104:105], v[86:87]
	v_mul_f64 v[104:105], v[68:69], s[20:21]
	v_add_f64 v[88:89], v[92:93], v[88:89]
	v_fma_f64 v[92:93], v[42:43], s[22:23], -v[98:99]
	v_fma_f64 v[106:107], s[12:13], v[36:37], v[104:105]
	v_fma_f64 v[90:91], v[34:35], s[0:1], -v[100:101]
	v_add_f64 v[92:93], v[0:1], v[92:93]
	v_add_f64 v[86:87], v[106:107], v[86:87]
	v_mul_f64 v[106:107], v[66:67], s[26:27]
	v_fmac_f64_e32 v[94:95], s[12:13], v[38:39]
	v_add_f64 v[90:91], v[90:91], v[92:93]
	v_fma_f64 v[92:93], v[32:33], s[16:17], -v[102:103]
	v_fma_f64 v[108:109], s[10:11], v[30:31], v[106:107]
	v_mul_f64 v[110:111], v[62:63], s[18:19]
	v_add_f64 v[88:89], v[94:95], v[88:89]
	v_fmac_f64_e32 v[96:97], s[10:11], v[58:59]
	v_add_f64 v[90:91], v[92:93], v[90:91]
	v_fma_f64 v[92:93], v[36:37], s[12:13], -v[104:105]
	v_add_f64 v[108:109], v[108:109], v[86:87]
	v_fma_f64 v[86:87], v[56:57], s[6:7], -v[110:111]
	v_mul_f64 v[112:113], v[60:61], s[18:19]
	v_add_f64 v[88:89], v[96:97], v[88:89]
	v_add_f64 v[90:91], v[92:93], v[90:91]
	v_fma_f64 v[92:93], v[30:31], s[10:11], -v[106:107]
	v_fmac_f64_e32 v[110:111], s[6:7], v[56:57]
	v_add_f64 v[92:93], v[92:93], v[90:91]
	v_add_f64 v[90:91], v[110:111], v[88:89]
	v_fma_f64 v[88:89], v[28:29], s[6:7], -v[112:113]
	v_mul_f64 v[96:97], v[82:83], s[26:27]
	v_add_f64 v[88:89], v[88:89], v[92:93]
	v_fma_f64 v[92:93], v[40:41], s[10:11], -v[96:97]
	v_mul_f64 v[98:99], v[80:81], s[24:25]
	;; [unrolled: 3-line block ×5, first 2 shown]
	v_add_f64 v[86:87], v[86:87], v[84:85]
	v_fma_f64 v[84:85], s[6:7], v[28:29], v[112:113]
	v_add_f64 v[92:93], v[94:95], v[92:93]
	v_fma_f64 v[94:95], v[58:59], s[22:23], -v[104:105]
	v_mul_f64 v[106:107], v[78:79], s[26:27]
	v_add_f64 v[84:85], v[84:85], v[108:109]
	v_add_f64 v[92:93], v[94:95], v[92:93]
	v_fma_f64 v[94:95], s[10:11], v[42:43], v[106:107]
	v_mul_f64 v[108:109], v[46:47], s[24:25]
	v_add_f64 v[94:95], v[0:1], v[94:95]
	v_fma_f64 v[110:111], s[16:17], v[34:35], v[108:109]
	v_fmac_f64_e32 v[96:97], s[10:11], v[40:41]
	v_add_f64 v[94:95], v[110:111], v[94:95]
	v_mul_f64 v[110:111], v[72:73], s[14:15]
	v_fmac_f64_e32 v[98:99], s[16:17], v[44:45]
	v_add_f64 v[96:97], v[2:3], v[96:97]
	v_fma_f64 v[112:113], s[0:1], v[32:33], v[110:111]
	v_add_f64 v[96:97], v[98:99], v[96:97]
	v_fmac_f64_e32 v[100:101], s[0:1], v[64:65]
	v_add_f64 v[94:95], v[112:113], v[94:95]
	v_mul_f64 v[112:113], v[68:69], s[36:37]
	v_add_f64 v[96:97], v[100:101], v[96:97]
	v_fma_f64 v[100:101], v[42:43], s[10:11], -v[106:107]
	v_fma_f64 v[114:115], s[6:7], v[36:37], v[112:113]
	v_fma_f64 v[98:99], v[34:35], s[16:17], -v[108:109]
	v_add_f64 v[100:101], v[0:1], v[100:101]
	v_add_f64 v[94:95], v[114:115], v[94:95]
	v_mul_f64 v[114:115], v[66:67], s[28:29]
	v_fmac_f64_e32 v[102:103], s[6:7], v[38:39]
	v_add_f64 v[98:99], v[98:99], v[100:101]
	v_fma_f64 v[100:101], v[32:33], s[0:1], -v[110:111]
	v_fma_f64 v[116:117], s[22:23], v[30:31], v[114:115]
	v_mul_f64 v[118:119], v[62:63], s[20:21]
	v_add_f64 v[96:97], v[102:103], v[96:97]
	v_fmac_f64_e32 v[104:105], s[22:23], v[58:59]
	v_add_f64 v[98:99], v[100:101], v[98:99]
	v_fma_f64 v[100:101], v[36:37], s[6:7], -v[112:113]
	v_add_f64 v[116:117], v[116:117], v[94:95]
	v_fma_f64 v[94:95], v[56:57], s[12:13], -v[118:119]
	v_mul_f64 v[120:121], v[60:61], s[20:21]
	v_add_f64 v[96:97], v[104:105], v[96:97]
	v_add_f64 v[98:99], v[100:101], v[98:99]
	v_fma_f64 v[100:101], v[30:31], s[22:23], -v[114:115]
	v_fmac_f64_e32 v[118:119], s[12:13], v[56:57]
	s_mov_b32 s21, 0xbfddbe06
	v_add_f64 v[100:101], v[100:101], v[98:99]
	v_add_f64 v[98:99], v[118:119], v[96:97]
	v_fma_f64 v[96:97], v[28:29], s[12:13], -v[120:121]
	v_mul_f64 v[82:83], v[82:83], s[20:21]
	v_add_f64 v[96:97], v[96:97], v[100:101]
	v_mul_f64 v[80:81], v[80:81], s[26:27]
	v_fma_f64 v[100:101], v[40:41], s[12:13], -v[82:83]
	v_add_f64 v[100:101], v[2:3], v[100:101]
	v_fma_f64 v[102:103], v[44:45], s[10:11], -v[80:81]
	v_mul_f64 v[76:77], v[76:77], s[30:31]
	v_add_f64 v[100:101], v[102:103], v[100:101]
	v_fma_f64 v[102:103], v[64:65], s[22:23], -v[76:77]
	v_mul_f64 v[74:75], v[74:75], s[24:25]
	;; [unrolled: 3-line block ×4, first 2 shown]
	v_add_f64 v[100:101], v[102:103], v[100:101]
	v_mul_f64 v[46:47], v[46:47], s[26:27]
	v_fma_f64 v[102:103], s[12:13], v[42:43], v[78:79]
	v_add_f64 v[102:103], v[0:1], v[102:103]
	v_fma_f64 v[104:105], s[10:11], v[34:35], v[46:47]
	v_mul_f64 v[72:73], v[72:73], s[30:31]
	v_add_f64 v[102:103], v[104:105], v[102:103]
	v_fma_f64 v[104:105], s[22:23], v[32:33], v[72:73]
	v_mul_f64 v[68:69], v[68:69], s[24:25]
	;; [unrolled: 3-line block ×3, first 2 shown]
	v_fmac_f64_e32 v[82:83], s[12:13], v[40:41]
	v_fma_f64 v[40:41], v[42:43], s[12:13], -v[78:79]
	v_add_f64 v[102:103], v[104:105], v[102:103]
	v_fma_f64 v[104:105], s[6:7], v[30:31], v[66:67]
	v_add_f64 v[0:1], v[0:1], v[40:41]
	v_fma_f64 v[34:35], v[34:35], s[10:11], -v[46:47]
	v_add_f64 v[102:103], v[104:105], v[102:103]
	v_mul_f64 v[104:105], v[62:63], s[14:15]
	v_fma_f64 v[32:33], v[32:33], s[22:23], -v[72:73]
	v_add_f64 v[0:1], v[34:35], v[0:1]
	v_fma_f64 v[62:63], v[56:57], s[0:1], -v[104:105]
	v_add_f64 v[2:3], v[2:3], v[82:83]
	v_fmac_f64_e32 v[80:81], s[10:11], v[44:45]
	v_fma_f64 v[36:37], v[36:37], s[16:17], -v[68:69]
	v_add_f64 v[0:1], v[32:33], v[0:1]
	v_add_f64 v[62:63], v[62:63], v[100:101]
	v_mul_f64 v[100:101], v[60:61], s[14:15]
	v_fmac_f64_e32 v[76:77], s[22:23], v[64:65]
	v_add_f64 v[2:3], v[80:81], v[2:3]
	v_fma_f64 v[30:31], v[30:31], s[6:7], -v[66:67]
	v_add_f64 v[0:1], v[36:37], v[0:1]
	v_add_f64 v[94:95], v[94:95], v[92:93]
	v_fma_f64 v[92:93], s[12:13], v[28:29], v[120:121]
	v_fma_f64 v[60:61], s[0:1], v[28:29], v[100:101]
	v_fmac_f64_e32 v[74:75], s[16:17], v[38:39]
	v_add_f64 v[2:3], v[76:77], v[2:3]
	v_fma_f64 v[28:29], v[28:29], s[0:1], -v[100:101]
	v_add_f64 v[0:1], v[30:31], v[0:1]
	v_fmac_f64_e32 v[70:71], s[6:7], v[58:59]
	v_add_f64 v[2:3], v[74:75], v[2:3]
	v_add_f64 v[0:1], v[28:29], v[0:1]
	v_mul_u32_u24_e32 v28, 0xd0, v54
	v_lshlrev_b32_e32 v29, 4, v55
	v_fmac_f64_e32 v[104:105], s[0:1], v[56:57]
	v_add_f64 v[2:3], v[70:71], v[2:3]
	v_add3_u32 v28, 0, v28, v29
	v_add_f64 v[92:93], v[92:93], v[116:117]
	v_add_f64 v[60:61], v[60:61], v[102:103]
	;; [unrolled: 1-line block ×3, first 2 shown]
	ds_write_b128 v28, v[4:7]
	ds_write_b128 v28, v[0:3] offset:16
	ds_write_b128 v28, v[96:99] offset:32
	;; [unrolled: 1-line block ×12, first 2 shown]
.LBB0_13:
	s_or_b64 exec, exec, s[2:3]
	s_waitcnt vmcnt(12)
	v_add_u32_e32 v0, -13, v54
	v_cmp_gt_u32_e64 s[0:1], 13, v54
	s_waitcnt vmcnt(11)
	v_mov_b32_e32 v5, 0
	s_waitcnt lgkmcnt(0)
	v_cndmask_b32_e64 v7, v0, v54, s[0:1]
	v_mul_i32_i24_e32 v4, 9, v7
	v_lshl_add_u64 v[0:1], v[4:5], 4, s[4:5]
	; wave barrier
	global_load_dwordx4 v[8:11], v[0:1], off
	global_load_dwordx4 v[12:15], v[0:1], off offset:16
	global_load_dwordx4 v[16:19], v[0:1], off offset:32
	;; [unrolled: 1-line block ×8, first 2 shown]
	v_lshlrev_b32_e32 v55, 4, v55
	v_lshlrev_b32_e32 v0, 4, v54
	v_add3_u32 v6, 0, v55, v0
	v_add3_u32 v4, 0, v0, v55
	ds_read_b128 v[0:3], v6
	s_waitcnt vmcnt(11)
	ds_read_b128 v[44:47], v4 offset:416
	s_waitcnt vmcnt(9)
	ds_read_b128 v[48:51], v4 offset:832
	ds_read_b128 v[56:59], v4 offset:1248
	;; [unrolled: 1-line block ×8, first 2 shown]
	s_mov_b32 s10, 0x134454ff
	s_mov_b32 s11, 0x3fee6f0e
	s_mov_b32 s12, 0x4755a5e
	s_mov_b32 s3, 0xbfee6f0e
	s_mov_b32 s2, s10
	s_mov_b32 s13, 0x3fe2cf23
	s_mov_b32 s0, 0x372fe950
	s_mov_b32 s7, 0xbfe2cf23
	s_mov_b32 s6, s12
	s_mov_b32 s1, 0x3fd3c6ef
	s_mov_b32 s14, 0x9b97f4a8
	s_mov_b32 s15, 0x3fe9e377
	v_lshlrev_b32_e32 v7, 4, v7
	s_waitcnt lgkmcnt(0)
	; wave barrier
	s_waitcnt vmcnt(8) lgkmcnt(0)
	v_mul_f64 v[84:85], v[46:47], v[10:11]
	v_mul_f64 v[86:87], v[44:45], v[10:11]
	s_waitcnt vmcnt(7)
	v_mul_f64 v[10:11], v[50:51], v[14:15]
	v_mul_f64 v[14:15], v[48:49], v[14:15]
	s_waitcnt vmcnt(5)
	;; [unrolled: 3-line block ×3, first 2 shown]
	v_mul_f64 v[94:95], v[70:71], v[30:31]
	v_mul_f64 v[88:89], v[58:59], v[18:19]
	;; [unrolled: 1-line block ×6, first 2 shown]
	s_waitcnt vmcnt(2)
	v_mul_f64 v[96:97], v[74:75], v[34:35]
	v_mul_f64 v[34:35], v[72:73], v[34:35]
	s_waitcnt vmcnt(1)
	v_mul_f64 v[98:99], v[78:79], v[38:39]
	v_mul_f64 v[38:39], v[76:77], v[38:39]
	;; [unrolled: 3-line block ×3, first 2 shown]
	v_fma_f64 v[44:45], v[44:45], v[8:9], -v[84:85]
	v_fmac_f64_e32 v[86:87], v[46:47], v[8:9]
	v_fma_f64 v[8:9], v[48:49], v[12:13], -v[10:11]
	v_fmac_f64_e32 v[14:15], v[50:51], v[12:13]
	;; [unrolled: 2-line block ×3, first 2 shown]
	v_fma_f64 v[20:21], v[68:69], v[28:29], -v[94:95]
	v_fma_f64 v[10:11], v[56:57], v[16:17], -v[88:89]
	v_fmac_f64_e32 v[18:19], v[58:59], v[16:17]
	v_fma_f64 v[16:17], v[64:65], v[24:25], -v[92:93]
	v_fmac_f64_e32 v[26:27], v[66:67], v[24:25]
	v_fmac_f64_e32 v[30:31], v[70:71], v[28:29]
	v_fma_f64 v[24:25], v[72:73], v[32:33], -v[96:97]
	v_fmac_f64_e32 v[34:35], v[74:75], v[32:33]
	v_fma_f64 v[28:29], v[76:77], v[36:37], -v[98:99]
	;; [unrolled: 2-line block ×3, first 2 shown]
	v_fmac_f64_e32 v[42:43], v[82:83], v[40:41]
	v_add_f64 v[40:41], v[12:13], v[20:21]
	v_add_f64 v[46:47], v[14:15], -v[38:39]
	v_add_f64 v[50:51], v[8:9], -v[12:13]
	;; [unrolled: 1-line block ×3, first 2 shown]
	v_fma_f64 v[40:41], -0.5, v[40:41], v[0:1]
	v_add_f64 v[48:49], v[22:23], -v[30:31]
	v_add_f64 v[50:51], v[50:51], v[56:57]
	v_fma_f64 v[56:57], s[10:11], v[46:47], v[40:41]
	v_fmac_f64_e32 v[40:41], s[2:3], v[46:47]
	v_fmac_f64_e32 v[56:57], s[12:13], v[48:49]
	;; [unrolled: 1-line block ×5, first 2 shown]
	v_add_f64 v[50:51], v[8:9], v[28:29]
	v_add_f64 v[36:37], v[0:1], v[8:9]
	v_fmac_f64_e32 v[0:1], -0.5, v[50:51]
	v_add_f64 v[36:37], v[36:37], v[12:13]
	v_fma_f64 v[50:51], s[2:3], v[48:49], v[0:1]
	v_add_f64 v[58:59], v[12:13], -v[8:9]
	v_add_f64 v[60:61], v[20:21], -v[28:29]
	v_fmac_f64_e32 v[0:1], s[10:11], v[48:49]
	v_add_f64 v[48:49], v[22:23], v[30:31]
	v_add_f64 v[36:37], v[36:37], v[20:21]
	v_fmac_f64_e32 v[50:51], s[12:13], v[46:47]
	v_add_f64 v[58:59], v[58:59], v[60:61]
	v_fmac_f64_e32 v[0:1], s[6:7], v[46:47]
	v_fma_f64 v[48:49], -0.5, v[48:49], v[2:3]
	v_add_f64 v[8:9], v[8:9], -v[28:29]
	v_add_f64 v[36:37], v[36:37], v[28:29]
	v_fmac_f64_e32 v[50:51], s[0:1], v[58:59]
	v_fmac_f64_e32 v[0:1], s[0:1], v[58:59]
	v_fma_f64 v[58:59], s[2:3], v[8:9], v[48:49]
	v_add_f64 v[12:13], v[12:13], -v[20:21]
	v_add_f64 v[20:21], v[14:15], -v[22:23]
	;; [unrolled: 1-line block ×3, first 2 shown]
	v_fmac_f64_e32 v[48:49], s[10:11], v[8:9]
	v_fmac_f64_e32 v[58:59], s[6:7], v[12:13]
	v_add_f64 v[20:21], v[20:21], v[28:29]
	v_fmac_f64_e32 v[48:49], s[12:13], v[12:13]
	v_fmac_f64_e32 v[58:59], s[0:1], v[20:21]
	;; [unrolled: 1-line block ×3, first 2 shown]
	v_add_f64 v[20:21], v[14:15], v[38:39]
	v_add_f64 v[46:47], v[2:3], v[14:15]
	v_fmac_f64_e32 v[2:3], -0.5, v[20:21]
	v_fma_f64 v[60:61], s[10:11], v[12:13], v[2:3]
	v_fmac_f64_e32 v[2:3], s[2:3], v[12:13]
	v_fmac_f64_e32 v[60:61], s[6:7], v[8:9]
	;; [unrolled: 1-line block ×3, first 2 shown]
	v_add_f64 v[8:9], v[44:45], v[10:11]
	v_add_f64 v[8:9], v[8:9], v[16:17]
	v_add_f64 v[8:9], v[8:9], v[24:25]
	v_add_f64 v[46:47], v[46:47], v[22:23]
	v_add_f64 v[14:15], v[22:23], -v[14:15]
	v_add_f64 v[20:21], v[30:31], -v[38:39]
	v_add_f64 v[28:29], v[8:9], v[32:33]
	v_add_f64 v[8:9], v[16:17], v[24:25]
	;; [unrolled: 1-line block ×4, first 2 shown]
	v_fma_f64 v[30:31], -0.5, v[8:9], v[44:45]
	v_add_f64 v[8:9], v[18:19], -v[42:43]
	v_fmac_f64_e32 v[60:61], s[0:1], v[14:15]
	v_fmac_f64_e32 v[2:3], s[0:1], v[14:15]
	v_fma_f64 v[14:15], s[10:11], v[8:9], v[30:31]
	v_add_f64 v[12:13], v[26:27], -v[34:35]
	v_add_f64 v[20:21], v[10:11], -v[16:17]
	;; [unrolled: 1-line block ×3, first 2 shown]
	v_fmac_f64_e32 v[30:31], s[2:3], v[8:9]
	v_fmac_f64_e32 v[14:15], s[12:13], v[12:13]
	v_add_f64 v[20:21], v[20:21], v[22:23]
	v_fmac_f64_e32 v[30:31], s[6:7], v[12:13]
	v_fmac_f64_e32 v[14:15], s[0:1], v[20:21]
	;; [unrolled: 1-line block ×3, first 2 shown]
	v_add_f64 v[20:21], v[10:11], v[32:33]
	v_fmac_f64_e32 v[44:45], -0.5, v[20:21]
	v_fma_f64 v[22:23], s[2:3], v[12:13], v[44:45]
	v_fmac_f64_e32 v[44:45], s[10:11], v[12:13]
	v_fmac_f64_e32 v[22:23], s[12:13], v[8:9]
	;; [unrolled: 1-line block ×3, first 2 shown]
	v_add_f64 v[8:9], v[86:87], v[18:19]
	v_add_f64 v[8:9], v[8:9], v[26:27]
	;; [unrolled: 1-line block ×3, first 2 shown]
	v_add_f64 v[20:21], v[16:17], -v[10:11]
	v_add_f64 v[38:39], v[24:25], -v[32:33]
	v_add_f64 v[8:9], v[8:9], v[34:35]
	v_add_f64 v[20:21], v[20:21], v[38:39]
	;; [unrolled: 1-line block ×4, first 2 shown]
	v_fma_f64 v[62:63], -0.5, v[8:9], v[86:87]
	v_add_f64 v[8:9], v[10:11], -v[32:33]
	v_fma_f64 v[32:33], s[2:3], v[8:9], v[62:63]
	v_add_f64 v[10:11], v[16:17], -v[24:25]
	v_add_f64 v[12:13], v[18:19], -v[26:27]
	;; [unrolled: 1-line block ×3, first 2 shown]
	v_fmac_f64_e32 v[62:63], s[10:11], v[8:9]
	v_fmac_f64_e32 v[32:33], s[6:7], v[10:11]
	v_add_f64 v[12:13], v[12:13], v[16:17]
	v_fmac_f64_e32 v[62:63], s[12:13], v[10:11]
	v_fmac_f64_e32 v[32:33], s[0:1], v[12:13]
	;; [unrolled: 1-line block ×3, first 2 shown]
	v_add_f64 v[12:13], v[18:19], v[42:43]
	v_fmac_f64_e32 v[86:87], -0.5, v[12:13]
	v_fma_f64 v[64:65], s[10:11], v[10:11], v[86:87]
	v_add_f64 v[12:13], v[26:27], -v[18:19]
	v_add_f64 v[16:17], v[34:35], -v[42:43]
	v_fmac_f64_e32 v[64:65], s[6:7], v[8:9]
	v_add_f64 v[12:13], v[12:13], v[16:17]
	v_fmac_f64_e32 v[86:87], s[2:3], v[10:11]
	v_fmac_f64_e32 v[64:65], s[0:1], v[12:13]
	;; [unrolled: 1-line block ×5, first 2 shown]
	v_mul_f64 v[42:43], v[64:65], s[10:11]
	v_fmac_f64_e32 v[44:45], s[0:1], v[20:21]
	v_fmac_f64_e32 v[42:43], s[0:1], v[22:23]
	v_mul_f64 v[72:73], v[22:23], s[2:3]
	v_mul_f64 v[22:23], v[86:87], s[0:1]
	;; [unrolled: 1-line block ×3, first 2 shown]
	v_fma_f64 v[44:45], v[44:45], s[2:3], -v[22:23]
	v_fmac_f64_e32 v[72:73], s[0:1], v[64:65]
	v_add_f64 v[22:23], v[2:3], v[44:45]
	v_add_f64 v[2:3], v[2:3], -v[44:45]
	v_mov_b32_e32 v44, 0x820
	v_cmp_lt_u32_e64 s[0:1], 12, v54
	v_mul_f64 v[34:35], v[32:33], s[12:13]
	v_fma_f64 v[66:67], v[86:87], s[10:11], -v[10:11]
	v_cndmask_b32_e64 v44, 0, v44, s[0:1]
	v_mul_f64 v[10:11], v[30:31], s[14:15]
	v_mul_f64 v[70:71], v[14:15], s[6:7]
	;; [unrolled: 1-line block ×3, first 2 shown]
	v_add_u32_e32 v44, 0, v44
	v_add_f64 v[8:9], v[36:37], v[28:29]
	v_fmac_f64_e32 v[34:35], s[14:15], v[14:15]
	v_fma_f64 v[68:69], v[62:63], s[12:13], -v[10:11]
	v_add_f64 v[10:11], v[46:47], v[38:39]
	v_fmac_f64_e32 v[70:71], s[14:15], v[32:33]
	v_fma_f64 v[62:63], v[30:31], s[6:7], -v[26:27]
	v_add3_u32 v7, v44, v7, v55
	v_add_f64 v[12:13], v[56:57], v[34:35]
	v_add_f64 v[16:17], v[50:51], v[42:43]
	;; [unrolled: 1-line block ×7, first 2 shown]
	v_add_f64 v[28:29], v[36:37], -v[28:29]
	v_add_f64 v[32:33], v[56:57], -v[34:35]
	;; [unrolled: 1-line block ×9, first 2 shown]
	ds_write_b128 v7, v[8:11]
	ds_write_b128 v7, v[12:15] offset:208
	ds_write_b128 v7, v[16:19] offset:416
	;; [unrolled: 1-line block ×9, first 2 shown]
	s_waitcnt lgkmcnt(0)
	; wave barrier
	s_waitcnt lgkmcnt(0)
	s_and_saveexec_b64 s[0:1], vcc
	s_cbranch_execz .LBB0_15
; %bb.14:
	v_mov_b32_e32 v55, v5
	v_lshl_add_u64 v[24:25], v[54:55], 4, s[4:5]
	global_load_dwordx4 v[0:3], v[24:25], off offset:3536
	global_load_dwordx4 v[8:11], v[24:25], off offset:3120
	global_load_dwordx4 v[12:15], v[24:25], off offset:2704
	global_load_dwordx4 v[16:19], v[24:25], off offset:2288
	global_load_dwordx4 v[20:23], v[24:25], off offset:1872
	ds_read_b128 v[24:27], v4 offset:3744
	ds_read_b128 v[28:31], v4 offset:3328
	;; [unrolled: 1-line block ×7, first 2 shown]
	ds_read_b128 v[56:59], v6
	ds_read_b128 v[60:63], v4 offset:1664
	ds_read_b128 v[4:7], v4 offset:2080
	v_mad_u64_u32 v[64:65], s[0:1], s8, v54, 0
	v_add_u32_e32 v55, 0x82, v54
	v_add_u32_e32 v75, 26, v54
	v_mov_b32_e32 v66, v65
	v_mad_u64_u32 v[68:69], s[0:1], s8, v55, 0
	v_mad_u64_u32 v[70:71], s[0:1], s8, v75, 0
	;; [unrolled: 1-line block ×3, first 2 shown]
	v_mov_b32_e32 v74, v69
	v_mov_b32_e32 v76, v71
	;; [unrolled: 1-line block ×3, first 2 shown]
	v_mad_u64_u32 v[66:67], s[0:1], s9, v55, v[74:75]
	v_mad_u64_u32 v[74:75], s[0:1], s9, v75, v[76:77]
	v_mov_b32_e32 v71, v74
	v_add_u32_e32 v82, 0x9c, v54
	v_mov_b32_e32 v69, v66
	v_mad_u64_u32 v[72:73], s[0:1], s8, v82, 0
	v_lshl_add_u64 v[64:65], v[64:65], 4, v[52:53]
	v_lshl_add_u64 v[66:67], v[68:69], 4, v[52:53]
	;; [unrolled: 1-line block ×3, first 2 shown]
	s_movk_i32 s2, 0x82
	s_waitcnt vmcnt(4) lgkmcnt(9)
	v_mul_f64 v[70:71], v[0:1], v[26:27]
	s_waitcnt vmcnt(3) lgkmcnt(8)
	v_mul_f64 v[74:75], v[8:9], v[30:31]
	v_mul_f64 v[30:31], v[10:11], v[30:31]
	s_waitcnt vmcnt(2) lgkmcnt(5)
	v_mul_f64 v[76:77], v[12:13], v[42:43]
	v_mul_f64 v[42:43], v[14:15], v[42:43]
	s_waitcnt vmcnt(1) lgkmcnt(4)
	v_mul_f64 v[78:79], v[16:17], v[46:47]
	v_mul_f64 v[46:47], v[18:19], v[46:47]
	s_waitcnt vmcnt(0) lgkmcnt(0)
	v_mul_f64 v[80:81], v[20:21], v[6:7]
	v_mul_f64 v[6:7], v[22:23], v[6:7]
	v_fma_f64 v[8:9], v[28:29], v[8:9], -v[30:31]
	v_fmac_f64_e32 v[76:77], v[14:15], v[40:41]
	v_fma_f64 v[12:13], v[40:41], v[12:13], -v[42:43]
	v_fma_f64 v[16:17], v[44:45], v[16:17], -v[46:47]
	v_fmac_f64_e32 v[80:81], v[22:23], v[4:5]
	v_fma_f64 v[20:21], v[4:5], v[20:21], -v[6:7]
	v_fmac_f64_e32 v[74:75], v[10:11], v[28:29]
	v_fmac_f64_e32 v[78:79], v[18:19], v[44:45]
	v_add_f64 v[4:5], v[32:33], -v[8:9]
	v_add_f64 v[10:11], v[38:39], -v[76:77]
	;; [unrolled: 1-line block ×6, first 2 shown]
	v_mul_f64 v[26:27], v[2:3], v[26:27]
	v_add_f64 v[6:7], v[34:35], -v[74:75]
	v_add_f64 v[14:15], v[50:51], -v[78:79]
	v_fma_f64 v[30:31], v[38:39], 2.0, -v[10:11]
	v_fma_f64 v[28:29], v[36:37], 2.0, -v[8:9]
	v_fma_f64 v[38:39], v[58:59], 2.0, -v[18:19]
	v_fma_f64 v[36:37], v[56:57], 2.0, -v[16:17]
	v_fmac_f64_e32 v[70:71], v[2:3], v[24:25]
	v_fma_f64 v[0:1], v[24:25], v[0:1], -v[26:27]
	v_fma_f64 v[26:27], v[34:35], 2.0, -v[6:7]
	v_fma_f64 v[24:25], v[32:33], 2.0, -v[4:5]
	;; [unrolled: 1-line block ×4, first 2 shown]
	global_store_dwordx4 v[64:65], v[36:39], off
	global_store_dwordx4 v[66:67], v[16:19], off
	;; [unrolled: 1-line block ×3, first 2 shown]
	v_add_f64 v[2:3], v[62:63], -v[70:71]
	v_mov_b32_e32 v16, v73
	v_mad_u64_u32 v[16:17], s[0:1], s9, v82, v[16:17]
	v_mov_b32_e32 v73, v16
	v_lshl_add_u64 v[16:17], v[72:73], 4, v[52:53]
	global_store_dwordx4 v[16:17], v[12:15], off
	v_add_f64 v[0:1], v[60:61], -v[0:1]
	v_fma_f64 v[22:23], v[62:63], 2.0, -v[2:3]
	v_add_u32_e32 v15, 52, v54
	v_mad_u64_u32 v[12:13], s[0:1], s8, v15, 0
	v_mov_b32_e32 v14, v13
	v_mad_u64_u32 v[14:15], s[0:1], s9, v15, v[14:15]
	v_mov_b32_e32 v13, v14
	v_lshl_add_u64 v[12:13], v[12:13], 4, v[52:53]
	v_add_u32_e32 v15, 0xb6, v54
	global_store_dwordx4 v[12:13], v[28:31], off
	v_mad_u64_u32 v[12:13], s[0:1], s8, v15, 0
	v_mov_b32_e32 v14, v13
	v_mad_u64_u32 v[14:15], s[0:1], s9, v15, v[14:15]
	v_mov_b32_e32 v13, v14
	v_lshl_add_u64 v[12:13], v[12:13], 4, v[52:53]
	global_store_dwordx4 v[12:13], v[8:11], off
	v_fma_f64 v[20:21], v[60:61], 2.0, -v[0:1]
	s_nop 0
	v_add_u32_e32 v11, 0x4e, v54
	v_mad_u64_u32 v[8:9], s[0:1], s8, v11, 0
	v_mov_b32_e32 v10, v9
	v_mad_u64_u32 v[10:11], s[0:1], s9, v11, v[10:11]
	v_mov_b32_e32 v9, v10
	v_lshl_add_u64 v[8:9], v[8:9], 4, v[52:53]
	v_add_u32_e32 v11, 0xd0, v54
	global_store_dwordx4 v[8:9], v[24:27], off
	v_mad_u64_u32 v[8:9], s[0:1], s8, v11, 0
	v_mov_b32_e32 v10, v9
	v_mad_u64_u32 v[10:11], s[0:1], s9, v11, v[10:11]
	v_mov_b32_e32 v9, v10
	v_lshl_add_u64 v[8:9], v[8:9], 4, v[52:53]
	global_store_dwordx4 v[8:9], v[4:7], off
	s_mov_b32 s0, 0xfc0fc0fd
	s_nop 0
	v_add_u32_e32 v4, 0x68, v54
	v_mul_hi_u32 v5, v4, s0
	v_lshrrev_b32_e32 v5, 7, v5
	v_mad_u64_u32 v[4:5], s[0:1], v5, s2, v[4:5]
	v_mad_u64_u32 v[6:7], s[0:1], s8, v4, 0
	v_mov_b32_e32 v8, v7
	v_mad_u64_u32 v[8:9], s[0:1], s9, v4, v[8:9]
	v_mov_b32_e32 v7, v8
	v_lshl_add_u64 v[6:7], v[6:7], 4, v[52:53]
	global_store_dwordx4 v[6:7], v[20:23], off
	v_add_u32_e32 v7, 0x82, v4
	v_mad_u64_u32 v[4:5], s[0:1], s8, v7, 0
	v_mov_b32_e32 v6, v5
	v_mad_u64_u32 v[6:7], s[0:1], s9, v7, v[6:7]
	v_mov_b32_e32 v5, v6
	v_lshl_add_u64 v[4:5], v[4:5], 4, v[52:53]
	global_store_dwordx4 v[4:5], v[0:3], off
.LBB0_15:
	s_endpgm
	.section	.rodata,"a",@progbits
	.p2align	6, 0x0
	.amdhsa_kernel fft_rtc_fwd_len260_factors_13_10_2_wgs_52_tpt_26_dp_ip_CI_sbrr_dirReg
		.amdhsa_group_segment_fixed_size 0
		.amdhsa_private_segment_fixed_size 0
		.amdhsa_kernarg_size 88
		.amdhsa_user_sgpr_count 2
		.amdhsa_user_sgpr_dispatch_ptr 0
		.amdhsa_user_sgpr_queue_ptr 0
		.amdhsa_user_sgpr_kernarg_segment_ptr 1
		.amdhsa_user_sgpr_dispatch_id 0
		.amdhsa_user_sgpr_kernarg_preload_length 0
		.amdhsa_user_sgpr_kernarg_preload_offset 0
		.amdhsa_user_sgpr_private_segment_size 0
		.amdhsa_uses_dynamic_stack 0
		.amdhsa_enable_private_segment 0
		.amdhsa_system_sgpr_workgroup_id_x 1
		.amdhsa_system_sgpr_workgroup_id_y 0
		.amdhsa_system_sgpr_workgroup_id_z 0
		.amdhsa_system_sgpr_workgroup_info 0
		.amdhsa_system_vgpr_workitem_id 0
		.amdhsa_next_free_vgpr 122
		.amdhsa_next_free_sgpr 40
		.amdhsa_accum_offset 124
		.amdhsa_reserve_vcc 1
		.amdhsa_float_round_mode_32 0
		.amdhsa_float_round_mode_16_64 0
		.amdhsa_float_denorm_mode_32 3
		.amdhsa_float_denorm_mode_16_64 3
		.amdhsa_dx10_clamp 1
		.amdhsa_ieee_mode 1
		.amdhsa_fp16_overflow 0
		.amdhsa_tg_split 0
		.amdhsa_exception_fp_ieee_invalid_op 0
		.amdhsa_exception_fp_denorm_src 0
		.amdhsa_exception_fp_ieee_div_zero 0
		.amdhsa_exception_fp_ieee_overflow 0
		.amdhsa_exception_fp_ieee_underflow 0
		.amdhsa_exception_fp_ieee_inexact 0
		.amdhsa_exception_int_div_zero 0
	.end_amdhsa_kernel
	.text
.Lfunc_end0:
	.size	fft_rtc_fwd_len260_factors_13_10_2_wgs_52_tpt_26_dp_ip_CI_sbrr_dirReg, .Lfunc_end0-fft_rtc_fwd_len260_factors_13_10_2_wgs_52_tpt_26_dp_ip_CI_sbrr_dirReg
                                        ; -- End function
	.section	.AMDGPU.csdata,"",@progbits
; Kernel info:
; codeLenInByte = 8112
; NumSgprs: 46
; NumVgprs: 122
; NumAgprs: 0
; TotalNumVgprs: 122
; ScratchSize: 0
; MemoryBound: 1
; FloatMode: 240
; IeeeMode: 1
; LDSByteSize: 0 bytes/workgroup (compile time only)
; SGPRBlocks: 5
; VGPRBlocks: 15
; NumSGPRsForWavesPerEU: 46
; NumVGPRsForWavesPerEU: 122
; AccumOffset: 124
; Occupancy: 4
; WaveLimiterHint : 1
; COMPUTE_PGM_RSRC2:SCRATCH_EN: 0
; COMPUTE_PGM_RSRC2:USER_SGPR: 2
; COMPUTE_PGM_RSRC2:TRAP_HANDLER: 0
; COMPUTE_PGM_RSRC2:TGID_X_EN: 1
; COMPUTE_PGM_RSRC2:TGID_Y_EN: 0
; COMPUTE_PGM_RSRC2:TGID_Z_EN: 0
; COMPUTE_PGM_RSRC2:TIDIG_COMP_CNT: 0
; COMPUTE_PGM_RSRC3_GFX90A:ACCUM_OFFSET: 30
; COMPUTE_PGM_RSRC3_GFX90A:TG_SPLIT: 0
	.text
	.p2alignl 6, 3212836864
	.fill 256, 4, 3212836864
	.type	__hip_cuid_247f70f00c003a34,@object ; @__hip_cuid_247f70f00c003a34
	.section	.bss,"aw",@nobits
	.globl	__hip_cuid_247f70f00c003a34
__hip_cuid_247f70f00c003a34:
	.byte	0                               ; 0x0
	.size	__hip_cuid_247f70f00c003a34, 1

	.ident	"AMD clang version 19.0.0git (https://github.com/RadeonOpenCompute/llvm-project roc-6.4.0 25133 c7fe45cf4b819c5991fe208aaa96edf142730f1d)"
	.section	".note.GNU-stack","",@progbits
	.addrsig
	.addrsig_sym __hip_cuid_247f70f00c003a34
	.amdgpu_metadata
---
amdhsa.kernels:
  - .agpr_count:     0
    .args:
      - .actual_access:  read_only
        .address_space:  global
        .offset:         0
        .size:           8
        .value_kind:     global_buffer
      - .offset:         8
        .size:           8
        .value_kind:     by_value
      - .actual_access:  read_only
        .address_space:  global
        .offset:         16
        .size:           8
        .value_kind:     global_buffer
      - .actual_access:  read_only
        .address_space:  global
        .offset:         24
        .size:           8
        .value_kind:     global_buffer
      - .offset:         32
        .size:           8
        .value_kind:     by_value
      - .actual_access:  read_only
        .address_space:  global
        .offset:         40
        .size:           8
        .value_kind:     global_buffer
      - .actual_access:  read_only
        .address_space:  global
        .offset:         48
        .size:           8
        .value_kind:     global_buffer
      - .offset:         56
        .size:           4
        .value_kind:     by_value
      - .actual_access:  read_only
        .address_space:  global
        .offset:         64
        .size:           8
        .value_kind:     global_buffer
      - .actual_access:  read_only
        .address_space:  global
        .offset:         72
        .size:           8
        .value_kind:     global_buffer
      - .address_space:  global
        .offset:         80
        .size:           8
        .value_kind:     global_buffer
    .group_segment_fixed_size: 0
    .kernarg_segment_align: 8
    .kernarg_segment_size: 88
    .language:       OpenCL C
    .language_version:
      - 2
      - 0
    .max_flat_workgroup_size: 52
    .name:           fft_rtc_fwd_len260_factors_13_10_2_wgs_52_tpt_26_dp_ip_CI_sbrr_dirReg
    .private_segment_fixed_size: 0
    .sgpr_count:     46
    .sgpr_spill_count: 0
    .symbol:         fft_rtc_fwd_len260_factors_13_10_2_wgs_52_tpt_26_dp_ip_CI_sbrr_dirReg.kd
    .uniform_work_group_size: 1
    .uses_dynamic_stack: false
    .vgpr_count:     122
    .vgpr_spill_count: 0
    .wavefront_size: 64
amdhsa.target:   amdgcn-amd-amdhsa--gfx950
amdhsa.version:
  - 1
  - 2
...

	.end_amdgpu_metadata
